;; amdgpu-corpus repo=zjin-lcf/HeCBench kind=compiled arch=gfx906 opt=O3
	.amdgcn_target "amdgcn-amd-amdhsa--gfx906"
	.amdhsa_code_object_version 6
	.text
	.protected	_Z6k_slowiiiPiS_jii     ; -- Begin function _Z6k_slowiiiPiS_jii
	.globl	_Z6k_slowiiiPiS_jii
	.p2align	8
	.type	_Z6k_slowiiiPiS_jii,@function
_Z6k_slowiiiPiS_jii:                    ; @_Z6k_slowiiiPiS_jii
; %bb.0:
	s_load_dword s7, s[4:5], 0x3c
	s_load_dwordx4 s[0:3], s[4:5], 0x20
	s_waitcnt lgkmcnt(0)
	s_and_b32 s3, s7, 0xffff
	s_mul_i32 s6, s6, s3
	v_add_u32_e32 v0, s6, v0
	v_cmp_gt_i32_e32 vcc, s2, v0
	s_and_saveexec_b64 s[2:3], vcc
	s_cbranch_execz .LBB0_28
; %bb.1:
	s_load_dwordx8 s[8:15], s[4:5], 0x0
	s_cmp_eq_u32 s0, 0
	s_mov_b32 s6, 0
	s_cbranch_scc1 .LBB0_4
; %bb.2:
	s_mov_b32 s2, 1
	s_waitcnt lgkmcnt(0)
	s_lshl_b32 s3, s10, 1
	s_mov_b32 s4, s0
.LBB0_3:                                ; =>This Inner Loop Header: Depth=1
	s_abs_i32 s7, s4
	v_cvt_f32_u32_e32 v1, s7
	s_sub_i32 s16, 0, s7
	s_abs_i32 s11, s3
	s_mov_b32 s5, s6
	v_rcp_iflag_f32_e32 v1, v1
	s_xor_b32 s6, s3, s4
	s_ashr_i32 s6, s6, 31
	v_mul_f32_e32 v1, 0x4f7ffffe, v1
	v_cvt_u32_f32_e32 v1, v1
	v_readfirstlane_b32 s17, v1
	s_mul_i32 s16, s16, s17
	s_mul_hi_u32 s16, s17, s16
	s_add_i32 s17, s17, s16
	s_mul_hi_u32 s16, s11, s17
	s_mul_i32 s17, s16, s7
	s_sub_i32 s11, s11, s17
	s_add_i32 s18, s16, 1
	s_sub_i32 s17, s11, s7
	s_cmp_ge_u32 s11, s7
	s_cselect_b32 s16, s18, s16
	s_cselect_b32 s11, s17, s11
	s_add_i32 s17, s16, 1
	s_cmp_ge_u32 s11, s7
	s_cselect_b32 s7, s17, s16
	s_xor_b32 s7, s7, s6
	s_sub_i32 s6, s7, s6
	s_mul_i32 s7, s6, s5
	s_mul_i32 s11, s6, s4
	s_sub_i32 s6, s2, s7
	s_sub_i32 s7, s3, s11
	s_cmp_lg_u32 s7, 0
	s_mov_b32 s2, s5
	s_mov_b32 s3, s4
	;; [unrolled: 1-line block ×3, first 2 shown]
	s_cbranch_scc1 .LBB0_3
	s_branch .LBB0_5
.LBB0_4:
	s_mov_b32 s5, 1
.LBB0_5:
	s_sub_i32 s3, s5, s0
.LBB0_6:                                ; =>This Inner Loop Header: Depth=1
	s_add_i32 s3, s3, s0
	s_cmp_lt_i32 s3, 0
	s_cbranch_scc1 .LBB0_6
; %bb.7:
	v_cvt_f32_u32_e32 v1, s0
	s_waitcnt lgkmcnt(0)
	s_mul_i32 s4, s9, s9
	s_mul_i32 s4, s4, 3
	s_sub_i32 s2, 0, s0
	v_rcp_iflag_f32_e32 v1, v1
	s_add_i32 s4, s1, s4
	v_mul_f32_e32 v1, 0x4f7ffffe, v1
	v_cvt_u32_f32_e32 v1, v1
	v_readfirstlane_b32 s1, v1
	s_mul_i32 s5, s2, s1
	s_mul_hi_u32 s5, s1, s5
	s_add_i32 s1, s1, s5
	s_mul_hi_u32 s5, s3, s1
	s_mul_i32 s5, s5, s0
	s_sub_i32 s3, s3, s5
	s_sub_i32 s5, s3, s0
	s_cmp_ge_u32 s3, s0
	s_cselect_b32 s3, s5, s3
	s_sub_i32 s5, s3, s0
	s_cmp_ge_u32 s3, s0
	s_cselect_b32 s3, s5, s3
	s_mul_i32 s4, s3, s4
	s_mul_i32 s3, s4, s4
	s_lshl_b32 s5, s9, 1
	s_sub_i32 s3, s3, s0
	s_sub_i32 s3, s3, s5
.LBB0_8:                                ; =>This Inner Loop Header: Depth=1
	s_add_i32 s3, s3, s0
	s_cmp_lt_i32 s3, 0
	s_cbranch_scc1 .LBB0_8
; %bb.9:
	s_mul_hi_u32 s5, s3, s1
	s_mul_i32 s5, s5, s0
	s_sub_i32 s3, s3, s5
	s_sub_i32 s5, s3, s0
	s_cmp_ge_u32 s3, s0
	s_cselect_b32 s3, s5, s3
	s_sub_i32 s5, s3, s0
	s_cmp_ge_u32 s3, s0
	v_ashrrev_i32_e32 v1, 31, v0
	s_cselect_b32 s3, s5, s3
	v_lshlrev_b64 v[2:3], 2, v[0:1]
	s_sub_i32 s5, s9, s3
	s_mul_i32 s5, s5, s4
	v_mov_b32_e32 v1, s13
	v_add_co_u32_e32 v0, vcc, s12, v2
	s_sub_i32 s4, s5, s0
	v_addc_co_u32_e32 v1, vcc, v1, v3, vcc
	v_mov_b32_e32 v4, s3
	s_sub_i32 s4, s4, s10
	global_store_dword v[0:1], v4, off
.LBB0_10:                               ; =>This Inner Loop Header: Depth=1
	s_add_i32 s4, s4, s0
	s_cmp_lt_i32 s4, 0
	s_cbranch_scc1 .LBB0_10
; %bb.11:
	s_mul_hi_u32 s5, s4, s1
	s_mul_i32 s5, s5, s0
	s_sub_i32 s4, s4, s5
	s_sub_i32 s5, s4, s0
	s_cmp_ge_u32 s4, s0
	s_cselect_b32 s4, s5, s4
	s_sub_i32 s5, s4, s0
	s_cmp_ge_u32 s4, s0
	v_mov_b32_e32 v4, s15
	v_add_co_u32_e32 v2, vcc, s14, v2
	s_cselect_b32 s6, s5, s4
	v_addc_co_u32_e32 v3, vcc, v4, v3, vcc
	v_mov_b32_e32 v4, s6
	s_cmp_lt_i32 s8, 3
	global_store_dword v[2:3], v4, off
	s_cbranch_scc1 .LBB0_28
; %bb.12:
	s_add_i32 s5, s8, -2
	s_sub_i32 s4, s9, s0
.LBB0_13:                               ; =>This Loop Header: Depth=1
                                        ;     Child Loop BB0_14 Depth 2
                                        ;     Child Loop BB0_16 Depth 2
	;; [unrolled: 1-line block ×6, first 2 shown]
	s_sub_i32 s7, s4, s3
.LBB0_14:                               ;   Parent Loop BB0_13 Depth=1
                                        ; =>  This Inner Loop Header: Depth=2
	s_add_i32 s7, s7, s0
	s_cmp_lt_i32 s7, 0
	s_cbranch_scc1 .LBB0_14
; %bb.15:                               ;   in Loop: Header=BB0_13 Depth=1
	s_mul_hi_u32 s8, s7, s1
	s_mul_i32 s8, s8, s0
	s_sub_i32 s7, s7, s8
	s_sub_i32 s8, s7, s0
	s_cmp_ge_u32 s7, s0
	s_cselect_b32 s7, s8, s7
	s_sub_i32 s8, s7, s0
	s_cmp_ge_u32 s7, s0
	s_cselect_b32 s7, s8, s7
	s_mov_b32 s13, 0
	s_mov_b32 s8, 1
	;; [unrolled: 1-line block ×3, first 2 shown]
.LBB0_16:                               ;   Parent Loop BB0_13 Depth=1
                                        ; =>  This Inner Loop Header: Depth=2
	s_abs_i32 s14, s11
	v_cvt_f32_u32_e32 v4, s14
	s_sub_i32 s16, 0, s14
	s_abs_i32 s15, s7
	s_mov_b32 s12, s13
	v_rcp_iflag_f32_e32 v4, v4
	s_xor_b32 s13, s7, s11
	s_ashr_i32 s13, s13, 31
	v_mul_f32_e32 v4, 0x4f7ffffe, v4
	v_cvt_u32_f32_e32 v4, v4
	v_readfirstlane_b32 s17, v4
	s_mul_i32 s16, s16, s17
	s_mul_hi_u32 s16, s17, s16
	s_add_i32 s17, s17, s16
	s_mul_hi_u32 s16, s15, s17
	s_mul_i32 s17, s16, s14
	s_sub_i32 s15, s15, s17
	s_add_i32 s18, s16, 1
	s_sub_i32 s17, s15, s14
	s_cmp_ge_u32 s15, s14
	s_cselect_b32 s16, s18, s16
	s_cselect_b32 s15, s17, s15
	s_add_i32 s17, s16, 1
	s_cmp_ge_u32 s15, s14
	s_cselect_b32 s14, s17, s16
	s_xor_b32 s14, s14, s13
	s_sub_i32 s13, s14, s13
	s_mul_i32 s14, s13, s12
	s_mul_i32 s15, s13, s11
	s_sub_i32 s13, s8, s14
	s_sub_i32 s14, s7, s15
	s_cmp_lg_u32 s14, 0
	s_mov_b32 s8, s12
	s_mov_b32 s7, s11
	;; [unrolled: 1-line block ×3, first 2 shown]
	s_cbranch_scc1 .LBB0_16
; %bb.17:                               ;   in Loop: Header=BB0_13 Depth=1
	s_add_i32 s7, s2, s12
.LBB0_18:                               ;   Parent Loop BB0_13 Depth=1
                                        ; =>  This Inner Loop Header: Depth=2
	s_add_i32 s7, s7, s0
	s_cmp_lt_i32 s7, 0
	s_cbranch_scc1 .LBB0_18
; %bb.19:                               ;   in Loop: Header=BB0_13 Depth=1
	s_mul_hi_u32 s11, s7, s1
	s_mul_i32 s11, s11, s0
	s_sub_i32 s7, s7, s11
	s_sub_i32 s8, s10, s6
	;; [unrolled: 1-line block ×3, first 2 shown]
	s_cmp_ge_u32 s7, s0
	s_cselect_b32 s7, s11, s7
	s_sub_i32 s11, s7, s0
	s_cmp_ge_u32 s7, s0
	s_cselect_b32 s7, s11, s7
	s_mul_i32 s7, s7, s8
	s_add_i32 s7, s2, s7
.LBB0_20:                               ;   Parent Loop BB0_13 Depth=1
                                        ; =>  This Inner Loop Header: Depth=2
	s_add_i32 s7, s7, s0
	s_cmp_lt_i32 s7, 0
	s_cbranch_scc1 .LBB0_20
; %bb.21:                               ;   in Loop: Header=BB0_13 Depth=1
	s_mul_hi_u32 s8, s7, s1
	s_mul_i32 s8, s8, s0
	s_sub_i32 s7, s7, s8
	s_sub_i32 s8, s7, s0
	s_cmp_ge_u32 s7, s0
	s_cselect_b32 s7, s8, s7
	s_sub_i32 s8, s7, s0
	s_cmp_ge_u32 s7, s0
	s_cselect_b32 s8, s8, s7
	s_mul_i32 s7, s8, s8
	s_add_i32 s11, s3, s9
	s_add_i32 s7, s2, s7
	s_sub_i32 s7, s7, s11
.LBB0_22:                               ;   Parent Loop BB0_13 Depth=1
                                        ; =>  This Inner Loop Header: Depth=2
	s_add_i32 s7, s7, s0
	s_cmp_lt_i32 s7, 0
	s_cbranch_scc1 .LBB0_22
; %bb.23:                               ;   in Loop: Header=BB0_13 Depth=1
	s_mul_hi_u32 s11, s7, s1
	s_mul_i32 s11, s11, s0
	s_sub_i32 s7, s7, s11
	s_sub_i32 s11, s7, s0
	s_cmp_ge_u32 s7, s0
	s_cselect_b32 s7, s11, s7
	s_sub_i32 s11, s7, s0
	s_cmp_ge_u32 s7, s0
	s_cselect_b32 s7, s11, s7
	s_sub_i32 s3, s3, s7
	s_mul_i32 s3, s3, s8
	s_add_i32 s3, s2, s3
	s_sub_i32 s3, s3, s6
.LBB0_24:                               ;   Parent Loop BB0_13 Depth=1
                                        ; =>  This Inner Loop Header: Depth=2
	s_add_i32 s3, s3, s0
	s_cmp_lt_i32 s3, 0
	s_cbranch_scc1 .LBB0_24
; %bb.25:                               ;   in Loop: Header=BB0_13 Depth=1
	s_mul_hi_u32 s6, s3, s1
	s_mul_i32 s6, s6, s0
	s_sub_i32 s3, s3, s6
	s_sub_i32 s6, s3, s0
	s_cmp_ge_u32 s3, s0
	s_cselect_b32 s3, s6, s3
	s_sub_i32 s6, s3, s0
	s_cmp_ge_u32 s3, s0
	s_cselect_b32 s6, s6, s3
	s_add_i32 s8, s5, -1
	s_cmp_gt_u32 s5, 1
	s_cbranch_scc0 .LBB0_27
; %bb.26:                               ;   in Loop: Header=BB0_13 Depth=1
	s_mov_b32 s3, s7
	s_mov_b32 s5, s8
	s_branch .LBB0_13
.LBB0_27:
	v_mov_b32_e32 v4, s7
	global_store_dword v[0:1], v4, off
	v_mov_b32_e32 v0, s6
	global_store_dword v[2:3], v0, off
.LBB0_28:
	s_endpgm
	.section	.rodata,"a",@progbits
	.p2align	6, 0x0
	.amdhsa_kernel _Z6k_slowiiiPiS_jii
		.amdhsa_group_segment_fixed_size 0
		.amdhsa_private_segment_fixed_size 0
		.amdhsa_kernarg_size 304
		.amdhsa_user_sgpr_count 6
		.amdhsa_user_sgpr_private_segment_buffer 1
		.amdhsa_user_sgpr_dispatch_ptr 0
		.amdhsa_user_sgpr_queue_ptr 0
		.amdhsa_user_sgpr_kernarg_segment_ptr 1
		.amdhsa_user_sgpr_dispatch_id 0
		.amdhsa_user_sgpr_flat_scratch_init 0
		.amdhsa_user_sgpr_private_segment_size 0
		.amdhsa_uses_dynamic_stack 0
		.amdhsa_system_sgpr_private_segment_wavefront_offset 0
		.amdhsa_system_sgpr_workgroup_id_x 1
		.amdhsa_system_sgpr_workgroup_id_y 0
		.amdhsa_system_sgpr_workgroup_id_z 0
		.amdhsa_system_sgpr_workgroup_info 0
		.amdhsa_system_vgpr_workitem_id 0
		.amdhsa_next_free_vgpr 5
		.amdhsa_next_free_sgpr 19
		.amdhsa_reserve_vcc 1
		.amdhsa_reserve_flat_scratch 0
		.amdhsa_float_round_mode_32 0
		.amdhsa_float_round_mode_16_64 0
		.amdhsa_float_denorm_mode_32 3
		.amdhsa_float_denorm_mode_16_64 3
		.amdhsa_dx10_clamp 1
		.amdhsa_ieee_mode 1
		.amdhsa_fp16_overflow 0
		.amdhsa_exception_fp_ieee_invalid_op 0
		.amdhsa_exception_fp_denorm_src 0
		.amdhsa_exception_fp_ieee_div_zero 0
		.amdhsa_exception_fp_ieee_overflow 0
		.amdhsa_exception_fp_ieee_underflow 0
		.amdhsa_exception_fp_ieee_inexact 0
		.amdhsa_exception_int_div_zero 0
	.end_amdhsa_kernel
	.text
.Lfunc_end0:
	.size	_Z6k_slowiiiPiS_jii, .Lfunc_end0-_Z6k_slowiiiPiS_jii
                                        ; -- End function
	.set _Z6k_slowiiiPiS_jii.num_vgpr, 5
	.set _Z6k_slowiiiPiS_jii.num_agpr, 0
	.set _Z6k_slowiiiPiS_jii.numbered_sgpr, 19
	.set _Z6k_slowiiiPiS_jii.num_named_barrier, 0
	.set _Z6k_slowiiiPiS_jii.private_seg_size, 0
	.set _Z6k_slowiiiPiS_jii.uses_vcc, 1
	.set _Z6k_slowiiiPiS_jii.uses_flat_scratch, 0
	.set _Z6k_slowiiiPiS_jii.has_dyn_sized_stack, 0
	.set _Z6k_slowiiiPiS_jii.has_recursion, 0
	.set _Z6k_slowiiiPiS_jii.has_indirect_call, 0
	.section	.AMDGPU.csdata,"",@progbits
; Kernel info:
; codeLenInByte = 1060
; TotalNumSgprs: 23
; NumVgprs: 5
; ScratchSize: 0
; MemoryBound: 0
; FloatMode: 240
; IeeeMode: 1
; LDSByteSize: 0 bytes/workgroup (compile time only)
; SGPRBlocks: 2
; VGPRBlocks: 1
; NumSGPRsForWavesPerEU: 23
; NumVGPRsForWavesPerEU: 5
; Occupancy: 10
; WaveLimiterHint : 0
; COMPUTE_PGM_RSRC2:SCRATCH_EN: 0
; COMPUTE_PGM_RSRC2:USER_SGPR: 6
; COMPUTE_PGM_RSRC2:TRAP_HANDLER: 0
; COMPUTE_PGM_RSRC2:TGID_X_EN: 1
; COMPUTE_PGM_RSRC2:TGID_Y_EN: 0
; COMPUTE_PGM_RSRC2:TGID_Z_EN: 0
; COMPUTE_PGM_RSRC2:TIDIG_COMP_CNT: 0
	.text
	.protected	_Z6k_fastiiiPiS_jii     ; -- Begin function _Z6k_fastiiiPiS_jii
	.globl	_Z6k_fastiiiPiS_jii
	.p2align	8
	.type	_Z6k_fastiiiPiS_jii,@function
_Z6k_fastiiiPiS_jii:                    ; @_Z6k_fastiiiPiS_jii
; %bb.0:
	s_load_dword s0, s[4:5], 0x3c
	s_load_dwordx4 s[16:19], s[4:5], 0x20
	s_waitcnt lgkmcnt(0)
	s_and_b32 s0, s0, 0xffff
	s_mul_i32 s6, s6, s0
	v_add_u32_e32 v0, s6, v0
	v_cmp_gt_i32_e32 vcc, s18, v0
	s_and_saveexec_b64 s[0:1], vcc
	s_cbranch_execz .LBB1_58
; %bb.1:
	s_load_dwordx8 s[8:15], s[4:5], 0x0
	v_ashrrev_i32_e32 v1, 31, v0
	v_lshlrev_b64 v[2:3], 2, v[0:1]
	s_waitcnt lgkmcnt(0)
	v_mov_b32_e32 v1, s13
	v_add_co_u32_e32 v0, vcc, s12, v2
	v_addc_co_u32_e32 v1, vcc, v1, v3, vcc
	v_mov_b32_e32 v4, s15
	v_add_co_u32_e32 v2, vcc, s14, v2
	v_addc_co_u32_e32 v3, vcc, v4, v3, vcc
	v_mov_b32_e32 v4, s9
	global_store_dword v[0:1], v4, off
	v_mov_b32_e32 v4, s10
	s_cmp_lt_i32 s8, 0
	global_store_dword v[2:3], v4, off
	s_cbranch_scc1 .LBB1_30
; %bb.2:
	s_cmp_gt_u32 s8, 0x3fffffff
	s_mov_b32 s2, 30
	s_cbranch_scc1 .LBB1_31
; %bb.3:
	s_cmp_gt_u32 s8, 0x1fffffff
	s_mov_b32 s2, 29
	;; [unrolled: 4-line block ×14, first 2 shown]
	s_cbranch_scc1 .LBB1_31
; %bb.16:
	s_cmpk_gt_u32 s8, 0xffff
	s_mov_b32 s2, 16
	s_cbranch_scc1 .LBB1_31
; %bb.17:
	s_cmpk_gt_u32 s8, 0x7fff
	s_mov_b32 s2, 15
	;; [unrolled: 4-line block ×10, first 2 shown]
	s_cbranch_scc1 .LBB1_31
; %bb.26:
	s_cmp_gt_u32 s8, 63
	s_mov_b32 s2, 6
	s_cbranch_scc1 .LBB1_31
; %bb.27:
	s_cmp_gt_u32 s8, 31
	s_mov_b32 s2, 5
	;; [unrolled: 4-line block ×3, first 2 shown]
	s_cbranch_scc1 .LBB1_31
; %bb.29:
	s_cmp_gt_u32 s8, 1
	s_cselect_b64 s[0:1], -1, 0
	v_cndmask_b32_e64 v4, 0, 1, s[0:1]
	s_cmp_lt_u32 s8, 4
	v_readfirstlane_b32 s0, v4
	s_cselect_b32 s0, s0, 2
	s_cmp_lt_u32 s8, 8
	s_cselect_b32 s2, s0, 3
	s_branch .LBB1_31
.LBB1_30:
	s_mov_b32 s2, 31
.LBB1_31:
	s_cmp_eq_u32 s2, 0
	s_cbranch_scc1 .LBB1_58
; %bb.32:
	v_cvt_f32_u32_e32 v4, s16
	s_cmp_lg_u32 s16, 0
	s_cselect_b64 s[0:1], -1, 0
	s_sub_i32 s3, 0, s16
	v_rcp_iflag_f32_e32 v4, v4
	v_cndmask_b32_e64 v5, 0, 1, s[0:1]
	s_mov_b32 s11, s9
	s_sub_i32 s4, s9, s16
	v_mul_f32_e32 v4, 0x4f7ffffe, v4
	v_cvt_u32_f32_e32 v4, v4
	v_cmp_ne_u32_e64 s[0:1], 1, v5
	v_readfirstlane_b32 s5, v4
	s_mul_i32 s6, s3, s5
	s_mul_hi_u32 s6, s5, s6
	s_add_i32 s5, s5, s6
	s_mov_b32 s6, s10
	s_and_b64 vcc, exec, s[0:1]
	s_mov_b32 s14, 1
	s_cbranch_vccnz .LBB1_35
.LBB1_33:
	s_mov_b32 s7, 1
	s_lshl_b32 s12, s6, 1
	s_mov_b32 s15, 0
	s_mov_b32 s13, s16
.LBB1_34:                               ; =>This Inner Loop Header: Depth=1
	s_abs_i32 s18, s13
	v_cvt_f32_u32_e32 v4, s18
	s_sub_i32 s20, 0, s18
	s_abs_i32 s19, s12
	s_mov_b32 s14, s15
	v_rcp_iflag_f32_e32 v4, v4
	s_xor_b32 s15, s12, s13
	s_ashr_i32 s15, s15, 31
	v_mul_f32_e32 v4, 0x4f7ffffe, v4
	v_cvt_u32_f32_e32 v4, v4
	v_readfirstlane_b32 s21, v4
	s_mul_i32 s20, s20, s21
	s_mul_hi_u32 s20, s21, s20
	s_add_i32 s21, s21, s20
	s_mul_hi_u32 s20, s19, s21
	s_mul_i32 s21, s20, s18
	s_sub_i32 s19, s19, s21
	s_add_i32 s22, s20, 1
	s_sub_i32 s21, s19, s18
	s_cmp_ge_u32 s19, s18
	s_cselect_b32 s20, s22, s20
	s_cselect_b32 s19, s21, s19
	s_add_i32 s21, s20, 1
	s_cmp_ge_u32 s19, s18
	s_cselect_b32 s18, s21, s20
	s_xor_b32 s18, s18, s15
	s_sub_i32 s15, s18, s15
	s_mul_i32 s18, s15, s14
	s_mul_i32 s19, s15, s13
	s_sub_i32 s15, s7, s18
	s_sub_i32 s18, s12, s19
	s_cmp_lg_u32 s18, 0
	s_mov_b32 s7, s14
	s_mov_b32 s12, s13
	;; [unrolled: 1-line block ×3, first 2 shown]
	s_cbranch_scc1 .LBB1_34
.LBB1_35:                               ; =>This Loop Header: Depth=1
                                        ;     Child Loop BB1_36 Depth 2
                                        ;     Child Loop BB1_38 Depth 2
	;; [unrolled: 1-line block ×9, first 2 shown]
	s_add_i32 s7, s3, s14
.LBB1_36:                               ;   Parent Loop BB1_35 Depth=1
                                        ; =>  This Inner Loop Header: Depth=2
	s_add_i32 s7, s7, s16
	s_cmp_lt_i32 s7, 0
	s_cbranch_scc1 .LBB1_36
; %bb.37:                               ;   in Loop: Header=BB1_35 Depth=1
	s_mul_hi_u32 s13, s7, s5
	s_mul_i32 s12, s11, s11
	s_mul_i32 s13, s13, s16
	;; [unrolled: 1-line block ×3, first 2 shown]
	s_sub_i32 s7, s7, s13
	s_add_i32 s12, s12, s17
	s_sub_i32 s13, s7, s16
	s_cmp_ge_u32 s7, s16
	s_cselect_b32 s7, s13, s7
	s_sub_i32 s13, s7, s16
	s_cmp_ge_u32 s7, s16
	s_cselect_b32 s7, s13, s7
	s_mul_i32 s7, s7, s12
	s_mul_i32 s12, s7, s7
	s_lshl_b32 s13, s11, 1
	s_add_i32 s12, s3, s12
	s_sub_i32 s12, s12, s13
.LBB1_38:                               ;   Parent Loop BB1_35 Depth=1
                                        ; =>  This Inner Loop Header: Depth=2
	s_add_i32 s12, s12, s16
	s_cmp_lt_i32 s12, 0
	s_cbranch_scc1 .LBB1_38
; %bb.39:                               ;   in Loop: Header=BB1_35 Depth=1
	s_mul_hi_u32 s13, s12, s5
	s_mul_i32 s13, s13, s16
	s_sub_i32 s12, s12, s13
	s_sub_i32 s13, s12, s16
	s_cmp_ge_u32 s12, s16
	s_cselect_b32 s12, s13, s12
	s_sub_i32 s13, s12, s16
	s_cmp_ge_u32 s12, s16
	s_cselect_b32 s12, s13, s12
	s_sub_i32 s11, s11, s12
	s_mul_i32 s11, s11, s7
	s_add_i32 s7, s3, s11
	s_sub_i32 s6, s7, s6
.LBB1_40:                               ;   Parent Loop BB1_35 Depth=1
                                        ; =>  This Inner Loop Header: Depth=2
	s_add_i32 s6, s6, s16
	s_cmp_lt_i32 s6, 0
	s_cbranch_scc1 .LBB1_40
; %bb.41:                               ;   in Loop: Header=BB1_35 Depth=1
	s_mul_hi_u32 s11, s6, s5
	s_mul_i32 s11, s11, s16
	s_sub_i32 s6, s6, s11
	s_add_i32 s7, s2, -1
	s_sub_i32 s11, s6, s16
	s_cmp_ge_u32 s6, s16
	s_cselect_b32 s6, s11, s6
	s_sub_i32 s11, s6, s16
	s_cmp_ge_u32 s6, s16
	s_cselect_b32 s6, s11, s6
	s_lshr_b32 s11, s8, s7
	s_bitcmp0_b32 s11, 0
	s_cbranch_scc1 .LBB1_55
; %bb.42:                               ;   in Loop: Header=BB1_35 Depth=1
	s_sub_i32 s11, s4, s12
.LBB1_43:                               ;   Parent Loop BB1_35 Depth=1
                                        ; =>  This Inner Loop Header: Depth=2
	s_add_i32 s11, s11, s16
	s_cmp_lt_i32 s11, 0
	s_cbranch_scc1 .LBB1_43
; %bb.44:                               ;   in Loop: Header=BB1_35 Depth=1
	s_mul_hi_u32 s13, s11, s5
	s_mul_i32 s13, s13, s16
	s_sub_i32 s11, s11, s13
	s_sub_i32 s13, s11, s16
	s_cmp_ge_u32 s11, s16
	s_cselect_b32 s11, s13, s11
	s_sub_i32 s13, s11, s16
	s_cmp_ge_u32 s11, s16
	s_cselect_b32 s11, s13, s11
	s_mov_b32 s18, 0
	s_mov_b32 s13, 1
	s_mov_b32 s14, s16
.LBB1_45:                               ;   Parent Loop BB1_35 Depth=1
                                        ; =>  This Inner Loop Header: Depth=2
	s_abs_i32 s19, s14
	v_cvt_f32_u32_e32 v4, s19
	s_sub_i32 s21, 0, s19
	s_abs_i32 s20, s11
	s_mov_b32 s15, s18
	v_rcp_iflag_f32_e32 v4, v4
	s_xor_b32 s18, s11, s14
	s_ashr_i32 s18, s18, 31
	v_mul_f32_e32 v4, 0x4f7ffffe, v4
	v_cvt_u32_f32_e32 v4, v4
	v_readfirstlane_b32 s22, v4
	s_mul_i32 s21, s21, s22
	s_mul_hi_u32 s21, s22, s21
	s_add_i32 s22, s22, s21
	s_mul_hi_u32 s21, s20, s22
	s_mul_i32 s22, s21, s19
	s_sub_i32 s20, s20, s22
	s_add_i32 s23, s21, 1
	s_sub_i32 s22, s20, s19
	s_cmp_ge_u32 s20, s19
	s_cselect_b32 s21, s23, s21
	s_cselect_b32 s20, s22, s20
	s_add_i32 s22, s21, 1
	s_cmp_ge_u32 s20, s19
	s_cselect_b32 s19, s22, s21
	s_xor_b32 s19, s19, s18
	s_sub_i32 s18, s19, s18
	s_mul_i32 s19, s18, s15
	s_mul_i32 s20, s18, s14
	s_sub_i32 s18, s13, s19
	s_sub_i32 s19, s11, s20
	s_cmp_lg_u32 s19, 0
	s_mov_b32 s13, s15
	s_mov_b32 s11, s14
	;; [unrolled: 1-line block ×3, first 2 shown]
	s_cbranch_scc1 .LBB1_45
; %bb.46:                               ;   in Loop: Header=BB1_35 Depth=1
	s_add_i32 s11, s3, s15
.LBB1_47:                               ;   Parent Loop BB1_35 Depth=1
                                        ; =>  This Inner Loop Header: Depth=2
	s_add_i32 s11, s11, s16
	s_cmp_lt_i32 s11, 0
	s_cbranch_scc1 .LBB1_47
; %bb.48:                               ;   in Loop: Header=BB1_35 Depth=1
	s_mul_hi_u32 s14, s11, s5
	s_mul_i32 s14, s14, s16
	s_sub_i32 s11, s11, s14
	s_sub_i32 s13, s10, s6
	;; [unrolled: 1-line block ×3, first 2 shown]
	s_cmp_ge_u32 s11, s16
	s_cselect_b32 s11, s14, s11
	s_sub_i32 s14, s11, s16
	s_cmp_ge_u32 s11, s16
	s_cselect_b32 s11, s14, s11
	s_mul_i32 s11, s11, s13
	s_add_i32 s11, s3, s11
.LBB1_49:                               ;   Parent Loop BB1_35 Depth=1
                                        ; =>  This Inner Loop Header: Depth=2
	s_add_i32 s11, s11, s16
	s_cmp_lt_i32 s11, 0
	s_cbranch_scc1 .LBB1_49
; %bb.50:                               ;   in Loop: Header=BB1_35 Depth=1
	s_mul_hi_u32 s13, s11, s5
	s_mul_i32 s13, s13, s16
	s_sub_i32 s11, s11, s13
	s_sub_i32 s13, s11, s16
	s_cmp_ge_u32 s11, s16
	s_cselect_b32 s11, s13, s11
	s_sub_i32 s13, s11, s16
	s_cmp_ge_u32 s11, s16
	s_cselect_b32 s13, s13, s11
	s_mul_i32 s11, s13, s13
	s_add_i32 s14, s12, s9
	s_add_i32 s11, s3, s11
	s_sub_i32 s11, s11, s14
.LBB1_51:                               ;   Parent Loop BB1_35 Depth=1
                                        ; =>  This Inner Loop Header: Depth=2
	s_add_i32 s11, s11, s16
	s_cmp_lt_i32 s11, 0
	s_cbranch_scc1 .LBB1_51
; %bb.52:                               ;   in Loop: Header=BB1_35 Depth=1
	s_mul_hi_u32 s14, s11, s5
	s_mul_i32 s14, s14, s16
	s_sub_i32 s11, s11, s14
	s_sub_i32 s14, s11, s16
	s_cmp_ge_u32 s11, s16
	s_cselect_b32 s11, s14, s11
	s_sub_i32 s14, s11, s16
	s_cmp_ge_u32 s11, s16
	s_cselect_b32 s11, s14, s11
	s_sub_i32 s12, s12, s11
	s_mul_i32 s12, s12, s13
	s_add_i32 s12, s3, s12
	s_sub_i32 s6, s12, s6
.LBB1_53:                               ;   Parent Loop BB1_35 Depth=1
                                        ; =>  This Inner Loop Header: Depth=2
	s_add_i32 s6, s6, s16
	s_cmp_lt_i32 s6, 0
	s_cbranch_scc1 .LBB1_53
; %bb.54:                               ;   in Loop: Header=BB1_35 Depth=1
	s_mul_hi_u32 s12, s6, s5
	s_mul_i32 s12, s12, s16
	s_sub_i32 s6, s6, s12
	s_sub_i32 s12, s6, s16
	s_cmp_ge_u32 s6, s16
	s_cselect_b32 s6, s12, s6
	s_sub_i32 s12, s6, s16
	s_cmp_ge_u32 s6, s16
	s_cselect_b32 s6, s12, s6
	s_cmp_gt_u32 s2, 1
	s_cbranch_scc1 .LBB1_56
	s_branch .LBB1_57
.LBB1_55:                               ;   in Loop: Header=BB1_35 Depth=1
	s_mov_b32 s11, s12
	s_cmp_gt_u32 s2, 1
	s_cbranch_scc0 .LBB1_57
.LBB1_56:                               ;   in Loop: Header=BB1_35 Depth=1
	s_mov_b32 s2, s7
	s_and_b64 vcc, exec, s[0:1]
	s_mov_b32 s14, 1
	s_cbranch_vccz .LBB1_33
	s_branch .LBB1_35
.LBB1_57:
	v_mov_b32_e32 v4, s11
	global_store_dword v[0:1], v4, off
	v_mov_b32_e32 v0, s6
	global_store_dword v[2:3], v0, off
.LBB1_58:
	s_endpgm
	.section	.rodata,"a",@progbits
	.p2align	6, 0x0
	.amdhsa_kernel _Z6k_fastiiiPiS_jii
		.amdhsa_group_segment_fixed_size 0
		.amdhsa_private_segment_fixed_size 0
		.amdhsa_kernarg_size 304
		.amdhsa_user_sgpr_count 6
		.amdhsa_user_sgpr_private_segment_buffer 1
		.amdhsa_user_sgpr_dispatch_ptr 0
		.amdhsa_user_sgpr_queue_ptr 0
		.amdhsa_user_sgpr_kernarg_segment_ptr 1
		.amdhsa_user_sgpr_dispatch_id 0
		.amdhsa_user_sgpr_flat_scratch_init 0
		.amdhsa_user_sgpr_private_segment_size 0
		.amdhsa_uses_dynamic_stack 0
		.amdhsa_system_sgpr_private_segment_wavefront_offset 0
		.amdhsa_system_sgpr_workgroup_id_x 1
		.amdhsa_system_sgpr_workgroup_id_y 0
		.amdhsa_system_sgpr_workgroup_id_z 0
		.amdhsa_system_sgpr_workgroup_info 0
		.amdhsa_system_vgpr_workitem_id 0
		.amdhsa_next_free_vgpr 6
		.amdhsa_next_free_sgpr 24
		.amdhsa_reserve_vcc 1
		.amdhsa_reserve_flat_scratch 0
		.amdhsa_float_round_mode_32 0
		.amdhsa_float_round_mode_16_64 0
		.amdhsa_float_denorm_mode_32 3
		.amdhsa_float_denorm_mode_16_64 3
		.amdhsa_dx10_clamp 1
		.amdhsa_ieee_mode 1
		.amdhsa_fp16_overflow 0
		.amdhsa_exception_fp_ieee_invalid_op 0
		.amdhsa_exception_fp_denorm_src 0
		.amdhsa_exception_fp_ieee_div_zero 0
		.amdhsa_exception_fp_ieee_overflow 0
		.amdhsa_exception_fp_ieee_underflow 0
		.amdhsa_exception_fp_ieee_inexact 0
		.amdhsa_exception_int_div_zero 0
	.end_amdhsa_kernel
	.text
.Lfunc_end1:
	.size	_Z6k_fastiiiPiS_jii, .Lfunc_end1-_Z6k_fastiiiPiS_jii
                                        ; -- End function
	.set _Z6k_fastiiiPiS_jii.num_vgpr, 6
	.set _Z6k_fastiiiPiS_jii.num_agpr, 0
	.set _Z6k_fastiiiPiS_jii.numbered_sgpr, 24
	.set _Z6k_fastiiiPiS_jii.num_named_barrier, 0
	.set _Z6k_fastiiiPiS_jii.private_seg_size, 0
	.set _Z6k_fastiiiPiS_jii.uses_vcc, 1
	.set _Z6k_fastiiiPiS_jii.uses_flat_scratch, 0
	.set _Z6k_fastiiiPiS_jii.has_dyn_sized_stack, 0
	.set _Z6k_fastiiiPiS_jii.has_recursion, 0
	.set _Z6k_fastiiiPiS_jii.has_indirect_call, 0
	.section	.AMDGPU.csdata,"",@progbits
; Kernel info:
; codeLenInByte = 1548
; TotalNumSgprs: 28
; NumVgprs: 6
; ScratchSize: 0
; MemoryBound: 0
; FloatMode: 240
; IeeeMode: 1
; LDSByteSize: 0 bytes/workgroup (compile time only)
; SGPRBlocks: 3
; VGPRBlocks: 1
; NumSGPRsForWavesPerEU: 28
; NumVGPRsForWavesPerEU: 6
; Occupancy: 10
; WaveLimiterHint : 0
; COMPUTE_PGM_RSRC2:SCRATCH_EN: 0
; COMPUTE_PGM_RSRC2:USER_SGPR: 6
; COMPUTE_PGM_RSRC2:TRAP_HANDLER: 0
; COMPUTE_PGM_RSRC2:TGID_X_EN: 1
; COMPUTE_PGM_RSRC2:TGID_Y_EN: 0
; COMPUTE_PGM_RSRC2:TGID_Z_EN: 0
; COMPUTE_PGM_RSRC2:TIDIG_COMP_CNT: 0
	.section	.AMDGPU.gpr_maximums,"",@progbits
	.set amdgpu.max_num_vgpr, 0
	.set amdgpu.max_num_agpr, 0
	.set amdgpu.max_num_sgpr, 0
	.section	.AMDGPU.csdata,"",@progbits
	.type	__hip_cuid_c6a4bde642d022d8,@object ; @__hip_cuid_c6a4bde642d022d8
	.section	.bss,"aw",@nobits
	.globl	__hip_cuid_c6a4bde642d022d8
__hip_cuid_c6a4bde642d022d8:
	.byte	0                               ; 0x0
	.size	__hip_cuid_c6a4bde642d022d8, 1

	.ident	"AMD clang version 22.0.0git (https://github.com/RadeonOpenCompute/llvm-project roc-7.2.4 26084 f58b06dce1f9c15707c5f808fd002e18c2accf7e)"
	.section	".note.GNU-stack","",@progbits
	.addrsig
	.addrsig_sym __hip_cuid_c6a4bde642d022d8
	.amdgpu_metadata
---
amdhsa.kernels:
  - .args:
      - .offset:         0
        .size:           4
        .value_kind:     by_value
      - .offset:         4
        .size:           4
        .value_kind:     by_value
      - .offset:         8
        .size:           4
        .value_kind:     by_value
      - .actual_access:  write_only
        .address_space:  global
        .offset:         16
        .size:           8
        .value_kind:     global_buffer
      - .actual_access:  write_only
        .address_space:  global
        .offset:         24
        .size:           8
        .value_kind:     global_buffer
      - .offset:         32
        .size:           4
        .value_kind:     by_value
      - .offset:         36
        .size:           4
        .value_kind:     by_value
      - .offset:         40
        .size:           4
        .value_kind:     by_value
      - .offset:         48
        .size:           4
        .value_kind:     hidden_block_count_x
      - .offset:         52
        .size:           4
        .value_kind:     hidden_block_count_y
      - .offset:         56
        .size:           4
        .value_kind:     hidden_block_count_z
      - .offset:         60
        .size:           2
        .value_kind:     hidden_group_size_x
      - .offset:         62
        .size:           2
        .value_kind:     hidden_group_size_y
      - .offset:         64
        .size:           2
        .value_kind:     hidden_group_size_z
      - .offset:         66
        .size:           2
        .value_kind:     hidden_remainder_x
      - .offset:         68
        .size:           2
        .value_kind:     hidden_remainder_y
      - .offset:         70
        .size:           2
        .value_kind:     hidden_remainder_z
      - .offset:         88
        .size:           8
        .value_kind:     hidden_global_offset_x
      - .offset:         96
        .size:           8
        .value_kind:     hidden_global_offset_y
      - .offset:         104
        .size:           8
        .value_kind:     hidden_global_offset_z
      - .offset:         112
        .size:           2
        .value_kind:     hidden_grid_dims
    .group_segment_fixed_size: 0
    .kernarg_segment_align: 8
    .kernarg_segment_size: 304
    .language:       OpenCL C
    .language_version:
      - 2
      - 0
    .max_flat_workgroup_size: 1024
    .name:           _Z6k_slowiiiPiS_jii
    .private_segment_fixed_size: 0
    .sgpr_count:     23
    .sgpr_spill_count: 0
    .symbol:         _Z6k_slowiiiPiS_jii.kd
    .uniform_work_group_size: 1
    .uses_dynamic_stack: false
    .vgpr_count:     5
    .vgpr_spill_count: 0
    .wavefront_size: 64
  - .args:
      - .offset:         0
        .size:           4
        .value_kind:     by_value
      - .offset:         4
        .size:           4
        .value_kind:     by_value
      - .offset:         8
        .size:           4
        .value_kind:     by_value
      - .actual_access:  write_only
        .address_space:  global
        .offset:         16
        .size:           8
        .value_kind:     global_buffer
      - .actual_access:  write_only
        .address_space:  global
        .offset:         24
        .size:           8
        .value_kind:     global_buffer
      - .offset:         32
        .size:           4
        .value_kind:     by_value
      - .offset:         36
        .size:           4
        .value_kind:     by_value
      - .offset:         40
        .size:           4
        .value_kind:     by_value
      - .offset:         48
        .size:           4
        .value_kind:     hidden_block_count_x
      - .offset:         52
        .size:           4
        .value_kind:     hidden_block_count_y
      - .offset:         56
        .size:           4
        .value_kind:     hidden_block_count_z
      - .offset:         60
        .size:           2
        .value_kind:     hidden_group_size_x
      - .offset:         62
        .size:           2
        .value_kind:     hidden_group_size_y
      - .offset:         64
        .size:           2
        .value_kind:     hidden_group_size_z
      - .offset:         66
        .size:           2
        .value_kind:     hidden_remainder_x
      - .offset:         68
        .size:           2
        .value_kind:     hidden_remainder_y
      - .offset:         70
        .size:           2
        .value_kind:     hidden_remainder_z
      - .offset:         88
        .size:           8
        .value_kind:     hidden_global_offset_x
      - .offset:         96
        .size:           8
        .value_kind:     hidden_global_offset_y
      - .offset:         104
        .size:           8
        .value_kind:     hidden_global_offset_z
      - .offset:         112
        .size:           2
        .value_kind:     hidden_grid_dims
    .group_segment_fixed_size: 0
    .kernarg_segment_align: 8
    .kernarg_segment_size: 304
    .language:       OpenCL C
    .language_version:
      - 2
      - 0
    .max_flat_workgroup_size: 1024
    .name:           _Z6k_fastiiiPiS_jii
    .private_segment_fixed_size: 0
    .sgpr_count:     28
    .sgpr_spill_count: 0
    .symbol:         _Z6k_fastiiiPiS_jii.kd
    .uniform_work_group_size: 1
    .uses_dynamic_stack: false
    .vgpr_count:     6
    .vgpr_spill_count: 0
    .wavefront_size: 64
amdhsa.target:   amdgcn-amd-amdhsa--gfx906
amdhsa.version:
  - 1
  - 2
...

	.end_amdgpu_metadata
